;; amdgpu-corpus repo=LLNL/RAJAPerf kind=compiled arch=gfx1250 opt=O3
	.amdgcn_target "amdgcn-amd-amdhsa--gfx1250"
	.amdhsa_code_object_version 6
	.section	.text._ZN8rajaperf4apps15Mass3DPA_AtomicILm64EEEvPdS2_S2_PlS2_,"axG",@progbits,_ZN8rajaperf4apps15Mass3DPA_AtomicILm64EEEvPdS2_S2_PlS2_,comdat
	.protected	_ZN8rajaperf4apps15Mass3DPA_AtomicILm64EEEvPdS2_S2_PlS2_ ; -- Begin function _ZN8rajaperf4apps15Mass3DPA_AtomicILm64EEEvPdS2_S2_PlS2_
	.globl	_ZN8rajaperf4apps15Mass3DPA_AtomicILm64EEEvPdS2_S2_PlS2_
	.p2align	8
	.type	_ZN8rajaperf4apps15Mass3DPA_AtomicILm64EEEvPdS2_S2_PlS2_,@function
_ZN8rajaperf4apps15Mass3DPA_AtomicILm64EEEvPdS2_S2_PlS2_: ; @_ZN8rajaperf4apps15Mass3DPA_AtomicILm64EEEvPdS2_S2_PlS2_
; %bb.0:
	s_clause 0x1
	s_load_b256 s[4:11], s[0:1], 0x0
	s_load_b64 s[12:13], s[0:1], 0x20
	s_wait_xcnt 0x0
	s_bfe_u32 s0, ttmp6, 0x4000c
	v_bfe_u32 v1, v0, 20, 10
	s_add_co_i32 s0, s0, 1
	s_and_b32 s1, ttmp6, 15
	s_mul_i32 s0, ttmp9, s0
	v_bfe_u32 v4, v0, 10, 10
	s_add_co_i32 s1, s1, s0
	s_getreg_b32 s0, hwreg(HW_REG_IB_STS2, 6, 4)
	v_cmp_gt_u32_e32 vcc_lo, 3, v1
	s_cmp_eq_u32 s0, 0
	s_mov_b32 s15, 0
	s_cselect_b32 s14, ttmp9, s1
	s_and_saveexec_b32 s1, vcc_lo
	s_cbranch_execz .LBB0_4
; %bb.1:
	v_cmp_gt_u32_e64 s0, 3, v4
	s_and_b32 exec_lo, exec_lo, s0
	s_cbranch_execz .LBB0_4
; %bb.2:
	v_and_b32_e32 v2, 0x3ff, v0
	s_delay_alu instid0(VALU_DEP_1)
	v_cmp_gt_u32_e64 s0, 3, v2
	s_and_b32 exec_lo, exec_lo, s0
	s_cbranch_execz .LBB0_4
; %bb.3:
	v_mul_u32_u24_e32 v5, 3, v1
	s_delay_alu instid0(VALU_DEP_1) | instskip(NEXT) | instid1(VALU_DEP_1)
	v_dual_mov_b32 v3, 0 :: v_dual_add_nc_u32 v5, v5, v4
	v_mad_nc_u64_u32 v[6:7], v5, 3, v[2:3]
	v_mul_u32_u24_e32 v3, 0x48, v1
	v_mul_u32_u24_e32 v5, 24, v4
	v_lshlrev_b32_e32 v2, 3, v2
	s_delay_alu instid0(VALU_DEP_1) | instskip(SKIP_3) | instid1(VALU_DEP_2)
	v_add3_u32 v2, v3, v5, v2
	s_wait_kmcnt 0x0
	v_lshl_add_u64 v[8:9], v[6:7], 3, s[10:11]
	v_lshlrev_b32_e32 v6, 3, v6
	v_mad_nc_u64_u32 v[8:9], 0xd8, s14, v[8:9]
	global_load_b64 v[8:9], v[8:9], off
	s_wait_loadcnt 0x0
	v_lshl_add_u64 v[10:11], v[8:9], 3, s[8:9]
	global_load_b64 v[10:11], v[10:11], off
	ds_store_b64 v6, v[8:9] offset:1024
	s_wait_loadcnt 0x0
	ds_store_b64 v2, v[10:11]
.LBB0_4:
	s_or_b32 exec_lo, exec_lo, s1
	v_and_b32_e32 v0, 0x3ff, v0
	v_cmp_gt_u32_e64 s0, 3, v4
	v_cmp_eq_u32_e64 s2, 0, v1
	s_delay_alu instid0(VALU_DEP_3) | instskip(SKIP_1) | instid1(SALU_CYCLE_1)
	v_cmp_gt_u32_e64 s1, 4, v0
	s_and_b32 s0, s0, s1
	s_and_b32 s1, s0, s2
	s_delay_alu instid0(SALU_CYCLE_1)
	s_and_saveexec_b32 s0, s1
	s_cbranch_execz .LBB0_6
; %bb.5:
	v_dual_mov_b32 v3, 0 :: v_dual_lshlrev_b32 v2, 5, v4
	s_delay_alu instid0(VALU_DEP_1) | instskip(SKIP_1) | instid1(VALU_DEP_2)
	v_dual_mov_b32 v9, v3 :: v_dual_lshlrev_b32 v8, 3, v0
	s_wait_kmcnt 0x0
	v_add_nc_u64_e32 v[6:7], s[4:5], v[2:3]
	v_lshlrev_b32_e32 v3, 3, v4
	s_delay_alu instid0(VALU_DEP_3) | instskip(NEXT) | instid1(VALU_DEP_2)
	v_add_nc_u32_e32 v2, v2, v8
	v_mad_u32_u24 v3, v0, 24, v3
	s_delay_alu instid0(VALU_DEP_4)
	v_add_nc_u64_e32 v[6:7], v[6:7], v[8:9]
	global_load_b64 v[6:7], v[6:7], off
	s_wait_loadcnt 0x0
	ds_store_b64 v3, v[6:7] offset:1248
	ds_store_b64 v2, v[6:7] offset:1344
.LBB0_6:
	s_or_b32 exec_lo, exec_lo, s0
	s_wait_dscnt 0x0
	s_barrier_signal -1
	s_barrier_wait -1
	s_and_saveexec_b32 s1, vcc_lo
	s_cbranch_execz .LBB0_10
; %bb.7:
	v_cmp_gt_u32_e64 s0, 3, v4
	s_and_b32 exec_lo, exec_lo, s0
	s_cbranch_execz .LBB0_10
; %bb.8:
	v_cmp_gt_u32_e64 s0, 4, v0
	s_and_b32 exec_lo, exec_lo, s0
	s_cbranch_execz .LBB0_10
; %bb.9:
	v_mul_u32_u24_e32 v2, 24, v4
	v_mul_u32_u24_e32 v5, 24, v0
	s_delay_alu instid0(VALU_DEP_2)
	v_mad_u32_u24 v2, 0x48, v1, v2
	ds_load_2addr_b64 v[6:9], v5 offset0:156 offset1:157
	ds_load_2addr_b64 v[10:13], v2 offset1:1
	ds_load_b64 v[2:3], v2 offset:16
	ds_load_b64 v[14:15], v5 offset:1264
	v_lshlrev_b32_e32 v5, 3, v0
	s_wait_dscnt 0x2
	v_fma_f64 v[6:7], v[10:11], v[6:7], 0
	s_delay_alu instid0(VALU_DEP_1) | instskip(SKIP_1) | instid1(VALU_DEP_1)
	v_fmac_f64_e32 v[6:7], v[12:13], v[8:9]
	s_wait_dscnt 0x0
	v_fmac_f64_e32 v[6:7], v[2:3], v[14:15]
	v_mul_u32_u24_e32 v2, 0x60, v1
	v_lshlrev_b32_e32 v3, 5, v4
	s_delay_alu instid0(VALU_DEP_1)
	v_add3_u32 v2, v2, v3, v5
	ds_store_b64 v2, v[6:7] offset:512
.LBB0_10:
	s_or_b32 exec_lo, exec_lo, s1
	s_wait_dscnt 0x0
	s_barrier_signal -1
	s_barrier_wait -1
	s_and_saveexec_b32 s1, vcc_lo
	s_cbranch_execz .LBB0_14
; %bb.11:
	v_cmp_gt_u32_e64 s0, 4, v4
	s_and_b32 exec_lo, exec_lo, s0
	s_cbranch_execz .LBB0_14
; %bb.12:
	v_cmp_gt_u32_e64 s0, 4, v0
	s_and_b32 exec_lo, exec_lo, s0
	s_cbranch_execz .LBB0_14
; %bb.13:
	v_lshlrev_b32_e32 v5, 3, v0
	v_mul_u32_u24_e32 v14, 24, v4
	s_delay_alu instid0(VALU_DEP_2)
	v_mad_u32_u24 v2, 0x60, v1, v5
	ds_load_2addr_b64 v[6:9], v2 offset0:64 offset1:68
	ds_load_2addr_b64 v[10:13], v14 offset0:156 offset1:157
	ds_load_b64 v[2:3], v2 offset:576
	s_wait_dscnt 0x1
	v_fma_f64 v[6:7], v[6:7], v[10:11], 0
	s_delay_alu instid0(VALU_DEP_1) | instskip(SKIP_4) | instid1(VALU_DEP_1)
	v_fmac_f64_e32 v[6:7], v[8:9], v[12:13]
	ds_load_b64 v[8:9], v14 offset:1264
	s_wait_dscnt 0x0
	v_fmac_f64_e32 v[6:7], v[2:3], v[8:9]
	v_dual_lshlrev_b32 v2, 7, v1 :: v_dual_lshlrev_b32 v3, 5, v4
	v_add3_u32 v2, v2, v3, v5
	ds_store_b64 v2, v[6:7]
.LBB0_14:
	s_or_b32 exec_lo, exec_lo, s1
	v_cmp_gt_u32_e64 s0, 4, v1
	s_wait_dscnt 0x0
	s_barrier_signal -1
	s_barrier_wait -1
	s_and_saveexec_b32 s2, s0
	s_cbranch_execz .LBB0_18
; %bb.15:
	v_cmp_gt_u32_e64 s1, 4, v4
	s_and_b32 exec_lo, exec_lo, s1
	s_cbranch_execz .LBB0_18
; %bb.16:
	v_cmp_gt_u32_e64 s1, 4, v0
	s_and_b32 exec_lo, exec_lo, s1
	s_cbranch_execz .LBB0_18
; %bb.17:
	v_dual_mov_b32 v3, 0 :: v_dual_lshlrev_b32 v2, 5, v4
	v_lshlrev_b32_e32 v14, 7, v1
	s_wait_kmcnt 0x0
	s_lshl_b64 s[4:5], s[14:15], 9
	v_lshlrev_b32_e32 v16, 3, v0
	v_mul_u32_u24_e32 v5, 24, v1
	v_add_nc_u64_e32 v[6:7], s[6:7], v[2:3]
	v_dual_mov_b32 v15, v3 :: v_dual_mov_b32 v17, v3
	s_delay_alu instid0(VALU_DEP_4) | instskip(SKIP_1) | instid1(VALU_DEP_3)
	v_add_nc_u32_e32 v3, v2, v16
	v_add3_u32 v2, v14, v2, v16
	v_add_nc_u64_e32 v[6:7], v[6:7], v[14:15]
	s_delay_alu instid0(VALU_DEP_1) | instskip(NEXT) | instid1(VALU_DEP_1)
	v_add_nc_u64_e32 v[6:7], s[4:5], v[6:7]
	v_add_nc_u64_e32 v[6:7], v[6:7], v[16:17]
	global_load_b64 v[18:19], v[6:7], off
	s_wait_xcnt 0x0
	ds_load_2addr_b64 v[6:9], v3 offset1:16
	ds_load_2addr_b64 v[10:13], v5 offset0:156 offset1:157
	ds_load_b64 v[20:21], v3 offset:256
	s_wait_dscnt 0x1
	v_fma_f64 v[6:7], v[6:7], v[10:11], 0
	s_delay_alu instid0(VALU_DEP_1) | instskip(SKIP_4) | instid1(VALU_DEP_1)
	v_fmac_f64_e32 v[6:7], v[8:9], v[12:13]
	ds_load_b64 v[8:9], v5 offset:1264
	s_wait_dscnt 0x0
	v_fmac_f64_e32 v[6:7], v[20:21], v[8:9]
	s_wait_loadcnt 0x0
	v_mul_f64_e32 v[6:7], v[6:7], v[18:19]
	ds_store_b64 v2, v[6:7] offset:512
.LBB0_18:
	s_or_b32 exec_lo, exec_lo, s2
	s_wait_dscnt 0x0
	s_barrier_signal -1
	s_barrier_wait -1
	s_and_saveexec_b32 s2, s0
	s_cbranch_execz .LBB0_22
; %bb.19:
	v_cmp_gt_u32_e64 s1, 4, v4
	s_and_b32 exec_lo, exec_lo, s1
	s_cbranch_execz .LBB0_22
; %bb.20:
	v_cmp_gt_u32_e64 s1, 3, v0
	s_and_b32 exec_lo, exec_lo, s1
	s_cbranch_execz .LBB0_22
; %bb.21:
	v_lshlrev_b32_e32 v2, 5, v4
	v_lshlrev_b32_e32 v3, 5, v0
	v_mul_u32_u24_e32 v5, 0x60, v1
	s_delay_alu instid0(VALU_DEP_3)
	v_lshl_add_u32 v2, v1, 7, v2
	ds_load_b128 v[6:9], v3 offset:1344
	ds_load_b128 v[10:13], v2 offset:512
	;; [unrolled: 1-line block ×4, first 2 shown]
	s_wait_dscnt 0x2
	v_fma_f64 v[2:3], v[10:11], v[6:7], 0
	v_mul_u32_u24_e32 v6, 24, v4
	v_lshlrev_b32_e32 v7, 3, v0
	s_delay_alu instid0(VALU_DEP_1) | instskip(NEXT) | instid1(VALU_DEP_4)
	v_add3_u32 v5, v5, v6, v7
	v_fmac_f64_e32 v[2:3], v[12:13], v[8:9]
	s_wait_dscnt 0x0
	s_delay_alu instid0(VALU_DEP_1) | instskip(NEXT) | instid1(VALU_DEP_1)
	v_fmac_f64_e32 v[2:3], v[14:15], v[18:19]
	v_fmac_f64_e32 v[2:3], v[16:17], v[20:21]
	ds_store_b64 v5, v[2:3]
.LBB0_22:
	s_or_b32 exec_lo, exec_lo, s2
	s_wait_dscnt 0x0
	s_barrier_signal -1
	s_barrier_wait -1
	s_and_saveexec_b32 s1, s0
	s_cbranch_execz .LBB0_26
; %bb.23:
	v_cmp_gt_u32_e64 s0, 3, v4
	s_and_b32 exec_lo, exec_lo, s0
	s_cbranch_execz .LBB0_26
; %bb.24:
	v_cmp_gt_u32_e64 s0, 3, v0
	s_and_b32 exec_lo, exec_lo, s0
	s_cbranch_execz .LBB0_26
; %bb.25:
	v_lshlrev_b32_e32 v5, 3, v0
	v_lshlrev_b32_e32 v2, 5, v4
	s_delay_alu instid0(VALU_DEP_2)
	v_mad_u32_u24 v18, 0x60, v1, v5
	ds_load_2addr_b64 v[6:9], v18 offset1:3
	ds_load_b128 v[10:13], v2 offset:1344
	ds_load_b128 v[14:17], v2 offset:1360
	s_wait_dscnt 0x1
	v_fma_f64 v[2:3], v[6:7], v[10:11], 0
	s_delay_alu instid0(VALU_DEP_1)
	v_fmac_f64_e32 v[2:3], v[8:9], v[12:13]
	ds_load_2addr_b64 v[6:9], v18 offset0:6 offset1:9
	s_wait_dscnt 0x0
	v_fmac_f64_e32 v[2:3], v[6:7], v[14:15]
	v_mul_u32_u24_e32 v6, 0x48, v1
	v_mul_u32_u24_e32 v7, 24, v4
	s_delay_alu instid0(VALU_DEP_1) | instskip(NEXT) | instid1(VALU_DEP_4)
	v_add3_u32 v5, v6, v7, v5
	v_fmac_f64_e32 v[2:3], v[8:9], v[16:17]
	ds_store_b64 v5, v[2:3] offset:512
.LBB0_26:
	s_or_b32 exec_lo, exec_lo, s1
	s_wait_dscnt 0x0
	s_barrier_signal -1
	s_barrier_wait -1
	s_and_saveexec_b32 s0, vcc_lo
	s_cbranch_execz .LBB0_30
; %bb.27:
	v_cmp_gt_u32_e32 vcc_lo, 3, v4
	s_and_b32 exec_lo, exec_lo, vcc_lo
	s_cbranch_execz .LBB0_30
; %bb.28:
	v_cmp_gt_u32_e32 vcc_lo, 3, v0
	s_and_b32 exec_lo, exec_lo, vcc_lo
	s_cbranch_execz .LBB0_30
; %bb.29:
	v_dual_lshlrev_b32 v0, 3, v0 :: v_dual_lshlrev_b32 v2, 5, v1
	v_mad_u32_u24 v1, v1, 3, v4
	s_delay_alu instid0(VALU_DEP_2)
	v_mad_u32_u24 v5, v4, 24, v0
	ds_load_2addr_b64 v[6:9], v5 offset0:64 offset1:73
	ds_load_b128 v[10:13], v2 offset:1344
	ds_load_b128 v[14:17], v2 offset:1360
	v_mad_u32_u24 v0, v1, 24, v0
	ds_load_b64 v[0:1], v0 offset:1024
	s_wait_dscnt 0x2
	v_fma_f64 v[2:3], v[6:7], v[10:11], 0
	s_wait_dscnt 0x0
	s_wait_kmcnt 0x0
	v_lshl_add_u64 v[0:1], v[0:1], 3, s[12:13]
	s_delay_alu instid0(VALU_DEP_2) | instskip(SKIP_3) | instid1(VALU_DEP_1)
	v_fmac_f64_e32 v[2:3], v[8:9], v[12:13]
	ds_load_2addr_b64 v[6:9], v5 offset0:82 offset1:91
	s_wait_dscnt 0x0
	v_fmac_f64_e32 v[2:3], v[6:7], v[14:15]
	v_fmac_f64_e32 v[2:3], v[8:9], v[16:17]
	global_atomic_add_f64 v[0:1], v[2:3], off scope:SCOPE_DEV
.LBB0_30:
	s_endpgm
	.section	.rodata,"a",@progbits
	.p2align	6, 0x0
	.amdhsa_kernel _ZN8rajaperf4apps15Mass3DPA_AtomicILm64EEEvPdS2_S2_PlS2_
		.amdhsa_group_segment_fixed_size 1440
		.amdhsa_private_segment_fixed_size 0
		.amdhsa_kernarg_size 40
		.amdhsa_user_sgpr_count 2
		.amdhsa_user_sgpr_dispatch_ptr 0
		.amdhsa_user_sgpr_queue_ptr 0
		.amdhsa_user_sgpr_kernarg_segment_ptr 1
		.amdhsa_user_sgpr_dispatch_id 0
		.amdhsa_user_sgpr_kernarg_preload_length 0
		.amdhsa_user_sgpr_kernarg_preload_offset 0
		.amdhsa_user_sgpr_private_segment_size 0
		.amdhsa_wavefront_size32 1
		.amdhsa_uses_dynamic_stack 0
		.amdhsa_enable_private_segment 0
		.amdhsa_system_sgpr_workgroup_id_x 1
		.amdhsa_system_sgpr_workgroup_id_y 0
		.amdhsa_system_sgpr_workgroup_id_z 0
		.amdhsa_system_sgpr_workgroup_info 0
		.amdhsa_system_vgpr_workitem_id 2
		.amdhsa_next_free_vgpr 22
		.amdhsa_next_free_sgpr 16
		.amdhsa_named_barrier_count 0
		.amdhsa_reserve_vcc 1
		.amdhsa_float_round_mode_32 0
		.amdhsa_float_round_mode_16_64 0
		.amdhsa_float_denorm_mode_32 3
		.amdhsa_float_denorm_mode_16_64 3
		.amdhsa_fp16_overflow 0
		.amdhsa_memory_ordered 1
		.amdhsa_forward_progress 1
		.amdhsa_inst_pref_size 13
		.amdhsa_round_robin_scheduling 0
		.amdhsa_exception_fp_ieee_invalid_op 0
		.amdhsa_exception_fp_denorm_src 0
		.amdhsa_exception_fp_ieee_div_zero 0
		.amdhsa_exception_fp_ieee_overflow 0
		.amdhsa_exception_fp_ieee_underflow 0
		.amdhsa_exception_fp_ieee_inexact 0
		.amdhsa_exception_int_div_zero 0
	.end_amdhsa_kernel
	.section	.text._ZN8rajaperf4apps15Mass3DPA_AtomicILm64EEEvPdS2_S2_PlS2_,"axG",@progbits,_ZN8rajaperf4apps15Mass3DPA_AtomicILm64EEEvPdS2_S2_PlS2_,comdat
.Lfunc_end0:
	.size	_ZN8rajaperf4apps15Mass3DPA_AtomicILm64EEEvPdS2_S2_PlS2_, .Lfunc_end0-_ZN8rajaperf4apps15Mass3DPA_AtomicILm64EEEvPdS2_S2_PlS2_
                                        ; -- End function
	.set _ZN8rajaperf4apps15Mass3DPA_AtomicILm64EEEvPdS2_S2_PlS2_.num_vgpr, 22
	.set _ZN8rajaperf4apps15Mass3DPA_AtomicILm64EEEvPdS2_S2_PlS2_.num_agpr, 0
	.set _ZN8rajaperf4apps15Mass3DPA_AtomicILm64EEEvPdS2_S2_PlS2_.numbered_sgpr, 16
	.set _ZN8rajaperf4apps15Mass3DPA_AtomicILm64EEEvPdS2_S2_PlS2_.num_named_barrier, 0
	.set _ZN8rajaperf4apps15Mass3DPA_AtomicILm64EEEvPdS2_S2_PlS2_.private_seg_size, 0
	.set _ZN8rajaperf4apps15Mass3DPA_AtomicILm64EEEvPdS2_S2_PlS2_.uses_vcc, 1
	.set _ZN8rajaperf4apps15Mass3DPA_AtomicILm64EEEvPdS2_S2_PlS2_.uses_flat_scratch, 0
	.set _ZN8rajaperf4apps15Mass3DPA_AtomicILm64EEEvPdS2_S2_PlS2_.has_dyn_sized_stack, 0
	.set _ZN8rajaperf4apps15Mass3DPA_AtomicILm64EEEvPdS2_S2_PlS2_.has_recursion, 0
	.set _ZN8rajaperf4apps15Mass3DPA_AtomicILm64EEEvPdS2_S2_PlS2_.has_indirect_call, 0
	.section	.AMDGPU.csdata,"",@progbits
; Kernel info:
; codeLenInByte = 1544
; TotalNumSgprs: 18
; NumVgprs: 22
; ScratchSize: 0
; MemoryBound: 0
; FloatMode: 240
; IeeeMode: 1
; LDSByteSize: 1440 bytes/workgroup (compile time only)
; SGPRBlocks: 0
; VGPRBlocks: 1
; NumSGPRsForWavesPerEU: 18
; NumVGPRsForWavesPerEU: 22
; NamedBarCnt: 0
; Occupancy: 16
; WaveLimiterHint : 1
; COMPUTE_PGM_RSRC2:SCRATCH_EN: 0
; COMPUTE_PGM_RSRC2:USER_SGPR: 2
; COMPUTE_PGM_RSRC2:TRAP_HANDLER: 0
; COMPUTE_PGM_RSRC2:TGID_X_EN: 1
; COMPUTE_PGM_RSRC2:TGID_Y_EN: 0
; COMPUTE_PGM_RSRC2:TGID_Z_EN: 0
; COMPUTE_PGM_RSRC2:TIDIG_COMP_CNT: 2
	.section	.text._ZN4RAJA34launch_new_reduce_global_fcn_fixedIZN8rajaperf4apps15MASS3DPA_ATOMIC17runHipVariantImplILm64EEEvNS1_9VariantIDEEUlNS_14LaunchContextTINS_3hip33LaunchContextIndicesAndDimsPolicyINS7_14IndicesAndDimsILb0ELb0ELb0ELb0EEEEEEEE_Li64ENS_4expt15ForallParamPackIJEEEEEvT_T1_,"axG",@progbits,_ZN4RAJA34launch_new_reduce_global_fcn_fixedIZN8rajaperf4apps15MASS3DPA_ATOMIC17runHipVariantImplILm64EEEvNS1_9VariantIDEEUlNS_14LaunchContextTINS_3hip33LaunchContextIndicesAndDimsPolicyINS7_14IndicesAndDimsILb0ELb0ELb0ELb0EEEEEEEE_Li64ENS_4expt15ForallParamPackIJEEEEEvT_T1_,comdat
	.protected	_ZN4RAJA34launch_new_reduce_global_fcn_fixedIZN8rajaperf4apps15MASS3DPA_ATOMIC17runHipVariantImplILm64EEEvNS1_9VariantIDEEUlNS_14LaunchContextTINS_3hip33LaunchContextIndicesAndDimsPolicyINS7_14IndicesAndDimsILb0ELb0ELb0ELb0EEEEEEEE_Li64ENS_4expt15ForallParamPackIJEEEEEvT_T1_ ; -- Begin function _ZN4RAJA34launch_new_reduce_global_fcn_fixedIZN8rajaperf4apps15MASS3DPA_ATOMIC17runHipVariantImplILm64EEEvNS1_9VariantIDEEUlNS_14LaunchContextTINS_3hip33LaunchContextIndicesAndDimsPolicyINS7_14IndicesAndDimsILb0ELb0ELb0ELb0EEEEEEEE_Li64ENS_4expt15ForallParamPackIJEEEEEvT_T1_
	.globl	_ZN4RAJA34launch_new_reduce_global_fcn_fixedIZN8rajaperf4apps15MASS3DPA_ATOMIC17runHipVariantImplILm64EEEvNS1_9VariantIDEEUlNS_14LaunchContextTINS_3hip33LaunchContextIndicesAndDimsPolicyINS7_14IndicesAndDimsILb0ELb0ELb0ELb0EEEEEEEE_Li64ENS_4expt15ForallParamPackIJEEEEEvT_T1_
	.p2align	8
	.type	_ZN4RAJA34launch_new_reduce_global_fcn_fixedIZN8rajaperf4apps15MASS3DPA_ATOMIC17runHipVariantImplILm64EEEvNS1_9VariantIDEEUlNS_14LaunchContextTINS_3hip33LaunchContextIndicesAndDimsPolicyINS7_14IndicesAndDimsILb0ELb0ELb0ELb0EEEEEEEE_Li64ENS_4expt15ForallParamPackIJEEEEEvT_T1_,@function
_ZN4RAJA34launch_new_reduce_global_fcn_fixedIZN8rajaperf4apps15MASS3DPA_ATOMIC17runHipVariantImplILm64EEEvNS1_9VariantIDEEUlNS_14LaunchContextTINS_3hip33LaunchContextIndicesAndDimsPolicyINS7_14IndicesAndDimsILb0ELb0ELb0ELb0EEEEEEEE_Li64ENS_4expt15ForallParamPackIJEEEEEvT_T1_: ; @_ZN4RAJA34launch_new_reduce_global_fcn_fixedIZN8rajaperf4apps15MASS3DPA_ATOMIC17runHipVariantImplILm64EEEvNS1_9VariantIDEEUlNS_14LaunchContextTINS_3hip33LaunchContextIndicesAndDimsPolicyINS7_14IndicesAndDimsILb0ELb0ELb0ELb0EEEEEEEE_Li64ENS_4expt15ForallParamPackIJEEEEEvT_T1_
; %bb.0:
	s_load_b256 s[4:11], s[0:1], 0x0
	s_bfe_u32 s2, ttmp6, 0x4000c
	s_and_b32 s3, ttmp6, 15
	s_add_co_i32 s2, s2, 1
	s_getreg_b32 s12, hwreg(HW_REG_IB_STS2, 6, 4)
	s_mul_i32 s2, ttmp9, s2
	s_mov_b32 s17, 0
	s_add_co_i32 s3, s3, s2
	s_cmp_eq_u32 s12, 0
	s_cselect_b32 s16, ttmp9, s3
	s_wait_kmcnt 0x0
	v_cmp_le_i64_e64 s2, s[4:5], s[16:17]
	s_and_b32 vcc_lo, exec_lo, s2
	s_cbranch_vccnz .LBB1_31
; %bb.1:
	s_load_b128 s[12:15], s[0:1], 0x20
	v_bfe_u32 v1, v0, 20, 10
	v_bfe_u32 v4, v0, 10, 10
	s_delay_alu instid0(VALU_DEP_2)
	v_cmp_gt_u32_e32 vcc_lo, 3, v1
	s_wait_xcnt 0x0
	s_and_saveexec_b32 s1, vcc_lo
	s_cbranch_execz .LBB1_5
; %bb.2:
	v_cmp_gt_u32_e64 s0, 3, v4
	s_and_b32 exec_lo, exec_lo, s0
	s_cbranch_execz .LBB1_5
; %bb.3:
	v_and_b32_e32 v2, 0x3ff, v0
	s_delay_alu instid0(VALU_DEP_1)
	v_cmp_gt_u32_e64 s0, 3, v2
	s_and_b32 exec_lo, exec_lo, s0
	s_cbranch_execz .LBB1_5
; %bb.4:
	v_mul_u32_u24_e32 v5, 3, v1
	s_delay_alu instid0(VALU_DEP_1) | instskip(NEXT) | instid1(VALU_DEP_1)
	v_dual_mov_b32 v3, 0 :: v_dual_add_nc_u32 v5, v5, v4
	v_mad_nc_u64_u32 v[6:7], v5, 3, v[2:3]
	v_mul_u32_u24_e32 v3, 0x48, v1
	v_mul_u32_u24_e32 v5, 24, v4
	v_lshlrev_b32_e32 v2, 3, v2
	s_delay_alu instid0(VALU_DEP_1) | instskip(SKIP_2) | instid1(VALU_DEP_2)
	v_add3_u32 v2, v3, v5, v2
	v_lshl_add_u64 v[8:9], v[6:7], 3, s[6:7]
	v_lshlrev_b32_e32 v6, 3, v6
	v_mad_nc_u64_u32 v[8:9], 0xd8, s16, v[8:9]
	global_load_b64 v[8:9], v[8:9], off
	s_wait_loadcnt 0x0
	v_lshl_add_u64 v[10:11], v[8:9], 3, s[8:9]
	global_load_b64 v[10:11], v[10:11], off
	ds_store_b64 v6, v[8:9] offset:1024
	s_wait_loadcnt 0x0
	ds_store_b64 v2, v[10:11]
.LBB1_5:
	s_or_b32 exec_lo, exec_lo, s1
	v_and_b32_e32 v0, 0x3ff, v0
	v_cmp_gt_u32_e64 s0, 3, v4
	v_cmp_eq_u32_e64 s2, 0, v1
	s_delay_alu instid0(VALU_DEP_3) | instskip(SKIP_1) | instid1(SALU_CYCLE_1)
	v_cmp_gt_u32_e64 s1, 4, v0
	s_and_b32 s0, s0, s1
	s_and_b32 s1, s0, s2
	s_delay_alu instid0(SALU_CYCLE_1)
	s_and_saveexec_b32 s0, s1
	s_cbranch_execz .LBB1_7
; %bb.6:
	v_dual_mov_b32 v3, 0 :: v_dual_lshlrev_b32 v2, 3, v0
	s_delay_alu instid0(VALU_DEP_1) | instskip(NEXT) | instid1(VALU_DEP_2)
	v_dual_mov_b32 v9, v3 :: v_dual_lshlrev_b32 v8, 5, v4
	v_add_nc_u64_e32 v[6:7], s[10:11], v[2:3]
	s_delay_alu instid0(VALU_DEP_2) | instskip(NEXT) | instid1(VALU_DEP_1)
	v_dual_lshlrev_b32 v3, 3, v4 :: v_dual_add_nc_u32 v2, v8, v2
	v_mad_u32_u24 v3, v0, 24, v3
	s_delay_alu instid0(VALU_DEP_3)
	v_add_nc_u64_e32 v[6:7], v[6:7], v[8:9]
	global_load_b64 v[6:7], v[6:7], off
	s_wait_loadcnt 0x0
	ds_store_b64 v3, v[6:7] offset:1248
	ds_store_b64 v2, v[6:7] offset:1344
.LBB1_7:
	s_or_b32 exec_lo, exec_lo, s0
	s_wait_dscnt 0x0
	s_barrier_signal -1
	s_barrier_wait -1
	s_and_saveexec_b32 s1, vcc_lo
	s_cbranch_execz .LBB1_11
; %bb.8:
	v_cmp_gt_u32_e64 s0, 3, v4
	s_and_b32 exec_lo, exec_lo, s0
	s_cbranch_execz .LBB1_11
; %bb.9:
	v_cmp_gt_u32_e64 s0, 4, v0
	s_and_b32 exec_lo, exec_lo, s0
	s_cbranch_execz .LBB1_11
; %bb.10:
	v_mul_u32_u24_e32 v2, 24, v4
	v_mul_u32_u24_e32 v5, 24, v0
	s_delay_alu instid0(VALU_DEP_2)
	v_mad_u32_u24 v2, 0x48, v1, v2
	ds_load_2addr_b64 v[6:9], v5 offset0:156 offset1:157
	ds_load_2addr_b64 v[10:13], v2 offset1:1
	ds_load_b64 v[2:3], v2 offset:16
	ds_load_b64 v[14:15], v5 offset:1264
	v_lshlrev_b32_e32 v5, 3, v0
	s_wait_dscnt 0x2
	v_fma_f64 v[6:7], v[10:11], v[6:7], 0
	s_delay_alu instid0(VALU_DEP_1) | instskip(SKIP_1) | instid1(VALU_DEP_1)
	v_fmac_f64_e32 v[6:7], v[12:13], v[8:9]
	s_wait_dscnt 0x0
	v_fmac_f64_e32 v[6:7], v[2:3], v[14:15]
	v_mul_u32_u24_e32 v2, 0x60, v1
	v_lshlrev_b32_e32 v3, 5, v4
	s_delay_alu instid0(VALU_DEP_1)
	v_add3_u32 v2, v2, v3, v5
	ds_store_b64 v2, v[6:7] offset:512
.LBB1_11:
	s_or_b32 exec_lo, exec_lo, s1
	s_wait_dscnt 0x0
	s_barrier_signal -1
	s_barrier_wait -1
	s_and_saveexec_b32 s1, vcc_lo
	s_cbranch_execz .LBB1_15
; %bb.12:
	v_cmp_gt_u32_e64 s0, 4, v4
	s_and_b32 exec_lo, exec_lo, s0
	s_cbranch_execz .LBB1_15
; %bb.13:
	v_cmp_gt_u32_e64 s0, 4, v0
	s_and_b32 exec_lo, exec_lo, s0
	s_cbranch_execz .LBB1_15
; %bb.14:
	v_lshlrev_b32_e32 v5, 3, v0
	v_mul_u32_u24_e32 v14, 24, v4
	s_delay_alu instid0(VALU_DEP_2)
	v_mad_u32_u24 v2, 0x60, v1, v5
	ds_load_2addr_b64 v[6:9], v2 offset0:64 offset1:68
	ds_load_2addr_b64 v[10:13], v14 offset0:156 offset1:157
	ds_load_b64 v[2:3], v2 offset:576
	s_wait_dscnt 0x1
	v_fma_f64 v[6:7], v[6:7], v[10:11], 0
	s_delay_alu instid0(VALU_DEP_1) | instskip(SKIP_4) | instid1(VALU_DEP_1)
	v_fmac_f64_e32 v[6:7], v[8:9], v[12:13]
	ds_load_b64 v[8:9], v14 offset:1264
	s_wait_dscnt 0x0
	v_fmac_f64_e32 v[6:7], v[2:3], v[8:9]
	v_dual_lshlrev_b32 v2, 7, v1 :: v_dual_lshlrev_b32 v3, 5, v4
	v_add3_u32 v2, v2, v3, v5
	ds_store_b64 v2, v[6:7]
.LBB1_15:
	s_or_b32 exec_lo, exec_lo, s1
	v_cmp_gt_u32_e64 s0, 4, v1
	s_wait_dscnt 0x0
	s_barrier_signal -1
	s_barrier_wait -1
	s_and_saveexec_b32 s2, s0
	s_cbranch_execz .LBB1_19
; %bb.16:
	v_cmp_gt_u32_e64 s1, 4, v4
	s_and_b32 exec_lo, exec_lo, s1
	s_cbranch_execz .LBB1_19
; %bb.17:
	v_cmp_gt_u32_e64 s1, 4, v0
	s_and_b32 exec_lo, exec_lo, s1
	s_cbranch_execz .LBB1_19
; %bb.18:
	v_dual_mov_b32 v3, 0 :: v_dual_lshlrev_b32 v2, 3, v0
	v_dual_lshlrev_b32 v14, 5, v4 :: v_dual_lshlrev_b32 v16, 7, v1
	s_lshl_b64 s[4:5], s[16:17], 9
	v_mul_u32_u24_e32 v5, 24, v1
	s_wait_kmcnt 0x0
	v_add_nc_u64_e32 v[6:7], s[12:13], v[2:3]
	v_dual_mov_b32 v15, v3 :: v_dual_mov_b32 v17, v3
	v_add_nc_u32_e32 v3, v14, v2
	v_add3_u32 v2, v16, v14, v2
	s_delay_alu instid0(VALU_DEP_3) | instskip(NEXT) | instid1(VALU_DEP_1)
	v_add_nc_u64_e32 v[6:7], v[6:7], v[14:15]
	v_add_nc_u64_e32 v[6:7], v[6:7], v[16:17]
	s_delay_alu instid0(VALU_DEP_1)
	v_add_nc_u64_e32 v[6:7], s[4:5], v[6:7]
	global_load_b64 v[18:19], v[6:7], off
	s_wait_xcnt 0x0
	ds_load_2addr_b64 v[6:9], v3 offset1:16
	ds_load_2addr_b64 v[10:13], v5 offset0:156 offset1:157
	ds_load_b64 v[20:21], v3 offset:256
	s_wait_dscnt 0x1
	v_fma_f64 v[6:7], v[6:7], v[10:11], 0
	s_delay_alu instid0(VALU_DEP_1) | instskip(SKIP_4) | instid1(VALU_DEP_1)
	v_fmac_f64_e32 v[6:7], v[8:9], v[12:13]
	ds_load_b64 v[8:9], v5 offset:1264
	s_wait_dscnt 0x0
	v_fmac_f64_e32 v[6:7], v[20:21], v[8:9]
	s_wait_loadcnt 0x0
	v_mul_f64_e32 v[6:7], v[18:19], v[6:7]
	ds_store_b64 v2, v[6:7] offset:512
.LBB1_19:
	s_or_b32 exec_lo, exec_lo, s2
	s_wait_dscnt 0x0
	s_barrier_signal -1
	s_barrier_wait -1
	s_and_saveexec_b32 s2, s0
	s_cbranch_execz .LBB1_23
; %bb.20:
	v_cmp_gt_u32_e64 s1, 4, v4
	s_and_b32 exec_lo, exec_lo, s1
	s_cbranch_execz .LBB1_23
; %bb.21:
	v_cmp_gt_u32_e64 s1, 3, v0
	s_and_b32 exec_lo, exec_lo, s1
	s_cbranch_execz .LBB1_23
; %bb.22:
	v_lshlrev_b32_e32 v2, 5, v4
	v_lshlrev_b32_e32 v3, 5, v0
	v_mul_u32_u24_e32 v5, 0x60, v1
	s_delay_alu instid0(VALU_DEP_3)
	v_lshl_add_u32 v2, v1, 7, v2
	ds_load_b128 v[6:9], v3 offset:1344
	ds_load_b128 v[10:13], v2 offset:512
	;; [unrolled: 1-line block ×4, first 2 shown]
	s_wait_dscnt 0x2
	v_fma_f64 v[2:3], v[10:11], v[6:7], 0
	v_mul_u32_u24_e32 v6, 24, v4
	v_lshlrev_b32_e32 v7, 3, v0
	s_delay_alu instid0(VALU_DEP_1) | instskip(NEXT) | instid1(VALU_DEP_4)
	v_add3_u32 v5, v5, v6, v7
	v_fmac_f64_e32 v[2:3], v[12:13], v[8:9]
	s_wait_dscnt 0x0
	s_delay_alu instid0(VALU_DEP_1) | instskip(NEXT) | instid1(VALU_DEP_1)
	v_fmac_f64_e32 v[2:3], v[14:15], v[18:19]
	v_fmac_f64_e32 v[2:3], v[16:17], v[20:21]
	ds_store_b64 v5, v[2:3]
.LBB1_23:
	s_or_b32 exec_lo, exec_lo, s2
	s_wait_dscnt 0x0
	s_barrier_signal -1
	s_barrier_wait -1
	s_and_saveexec_b32 s1, s0
	s_cbranch_execz .LBB1_27
; %bb.24:
	v_cmp_gt_u32_e64 s0, 3, v4
	s_and_b32 exec_lo, exec_lo, s0
	s_cbranch_execz .LBB1_27
; %bb.25:
	v_cmp_gt_u32_e64 s0, 3, v0
	s_and_b32 exec_lo, exec_lo, s0
	s_cbranch_execz .LBB1_27
; %bb.26:
	v_lshlrev_b32_e32 v5, 3, v0
	v_lshlrev_b32_e32 v2, 5, v4
	s_delay_alu instid0(VALU_DEP_2)
	v_mad_u32_u24 v18, 0x60, v1, v5
	ds_load_2addr_b64 v[6:9], v18 offset1:3
	ds_load_b128 v[10:13], v2 offset:1344
	ds_load_b128 v[14:17], v2 offset:1360
	s_wait_dscnt 0x1
	v_fma_f64 v[2:3], v[6:7], v[10:11], 0
	s_delay_alu instid0(VALU_DEP_1)
	v_fmac_f64_e32 v[2:3], v[8:9], v[12:13]
	ds_load_2addr_b64 v[6:9], v18 offset0:6 offset1:9
	s_wait_dscnt 0x0
	v_fmac_f64_e32 v[2:3], v[6:7], v[14:15]
	v_mul_u32_u24_e32 v6, 0x48, v1
	v_mul_u32_u24_e32 v7, 24, v4
	s_delay_alu instid0(VALU_DEP_1) | instskip(NEXT) | instid1(VALU_DEP_4)
	v_add3_u32 v5, v6, v7, v5
	v_fmac_f64_e32 v[2:3], v[8:9], v[16:17]
	ds_store_b64 v5, v[2:3] offset:512
.LBB1_27:
	s_or_b32 exec_lo, exec_lo, s1
	s_wait_dscnt 0x0
	s_barrier_signal -1
	s_barrier_wait -1
	s_and_saveexec_b32 s0, vcc_lo
	s_cbranch_execz .LBB1_31
; %bb.28:
	v_cmp_gt_u32_e32 vcc_lo, 3, v4
	s_and_b32 exec_lo, exec_lo, vcc_lo
	s_cbranch_execz .LBB1_31
; %bb.29:
	v_cmp_gt_u32_e32 vcc_lo, 3, v0
	s_and_b32 exec_lo, exec_lo, vcc_lo
	s_cbranch_execz .LBB1_31
; %bb.30:
	v_dual_lshlrev_b32 v0, 3, v0 :: v_dual_lshlrev_b32 v2, 5, v1
	v_mad_u32_u24 v1, v1, 3, v4
	s_delay_alu instid0(VALU_DEP_2)
	v_mad_u32_u24 v5, v4, 24, v0
	ds_load_2addr_b64 v[6:9], v5 offset0:64 offset1:73
	ds_load_b128 v[10:13], v2 offset:1344
	ds_load_b128 v[14:17], v2 offset:1360
	v_mad_u32_u24 v0, v1, 24, v0
	ds_load_b64 v[0:1], v0 offset:1024
	s_wait_dscnt 0x2
	v_fma_f64 v[2:3], v[6:7], v[10:11], 0
	s_wait_dscnt 0x0
	s_wait_kmcnt 0x0
	v_lshl_add_u64 v[0:1], v[0:1], 3, s[14:15]
	s_delay_alu instid0(VALU_DEP_2) | instskip(SKIP_3) | instid1(VALU_DEP_1)
	v_fmac_f64_e32 v[2:3], v[8:9], v[12:13]
	ds_load_2addr_b64 v[6:9], v5 offset0:82 offset1:91
	s_wait_dscnt 0x0
	v_fmac_f64_e32 v[2:3], v[6:7], v[14:15]
	v_fmac_f64_e32 v[2:3], v[8:9], v[16:17]
	global_atomic_add_f64 v[0:1], v[2:3], off scope:SCOPE_DEV
.LBB1_31:
	s_endpgm
	.section	.rodata,"a",@progbits
	.p2align	6, 0x0
	.amdhsa_kernel _ZN4RAJA34launch_new_reduce_global_fcn_fixedIZN8rajaperf4apps15MASS3DPA_ATOMIC17runHipVariantImplILm64EEEvNS1_9VariantIDEEUlNS_14LaunchContextTINS_3hip33LaunchContextIndicesAndDimsPolicyINS7_14IndicesAndDimsILb0ELb0ELb0ELb0EEEEEEEE_Li64ENS_4expt15ForallParamPackIJEEEEEvT_T1_
		.amdhsa_group_segment_fixed_size 1440
		.amdhsa_private_segment_fixed_size 0
		.amdhsa_kernarg_size 52
		.amdhsa_user_sgpr_count 2
		.amdhsa_user_sgpr_dispatch_ptr 0
		.amdhsa_user_sgpr_queue_ptr 0
		.amdhsa_user_sgpr_kernarg_segment_ptr 1
		.amdhsa_user_sgpr_dispatch_id 0
		.amdhsa_user_sgpr_kernarg_preload_length 0
		.amdhsa_user_sgpr_kernarg_preload_offset 0
		.amdhsa_user_sgpr_private_segment_size 0
		.amdhsa_wavefront_size32 1
		.amdhsa_uses_dynamic_stack 0
		.amdhsa_enable_private_segment 0
		.amdhsa_system_sgpr_workgroup_id_x 1
		.amdhsa_system_sgpr_workgroup_id_y 0
		.amdhsa_system_sgpr_workgroup_id_z 0
		.amdhsa_system_sgpr_workgroup_info 0
		.amdhsa_system_vgpr_workitem_id 2
		.amdhsa_next_free_vgpr 22
		.amdhsa_next_free_sgpr 18
		.amdhsa_named_barrier_count 0
		.amdhsa_reserve_vcc 1
		.amdhsa_float_round_mode_32 0
		.amdhsa_float_round_mode_16_64 0
		.amdhsa_float_denorm_mode_32 3
		.amdhsa_float_denorm_mode_16_64 3
		.amdhsa_fp16_overflow 0
		.amdhsa_memory_ordered 1
		.amdhsa_forward_progress 1
		.amdhsa_inst_pref_size 13
		.amdhsa_round_robin_scheduling 0
		.amdhsa_exception_fp_ieee_invalid_op 0
		.amdhsa_exception_fp_denorm_src 0
		.amdhsa_exception_fp_ieee_div_zero 0
		.amdhsa_exception_fp_ieee_overflow 0
		.amdhsa_exception_fp_ieee_underflow 0
		.amdhsa_exception_fp_ieee_inexact 0
		.amdhsa_exception_int_div_zero 0
	.end_amdhsa_kernel
	.section	.text._ZN4RAJA34launch_new_reduce_global_fcn_fixedIZN8rajaperf4apps15MASS3DPA_ATOMIC17runHipVariantImplILm64EEEvNS1_9VariantIDEEUlNS_14LaunchContextTINS_3hip33LaunchContextIndicesAndDimsPolicyINS7_14IndicesAndDimsILb0ELb0ELb0ELb0EEEEEEEE_Li64ENS_4expt15ForallParamPackIJEEEEEvT_T1_,"axG",@progbits,_ZN4RAJA34launch_new_reduce_global_fcn_fixedIZN8rajaperf4apps15MASS3DPA_ATOMIC17runHipVariantImplILm64EEEvNS1_9VariantIDEEUlNS_14LaunchContextTINS_3hip33LaunchContextIndicesAndDimsPolicyINS7_14IndicesAndDimsILb0ELb0ELb0ELb0EEEEEEEE_Li64ENS_4expt15ForallParamPackIJEEEEEvT_T1_,comdat
.Lfunc_end1:
	.size	_ZN4RAJA34launch_new_reduce_global_fcn_fixedIZN8rajaperf4apps15MASS3DPA_ATOMIC17runHipVariantImplILm64EEEvNS1_9VariantIDEEUlNS_14LaunchContextTINS_3hip33LaunchContextIndicesAndDimsPolicyINS7_14IndicesAndDimsILb0ELb0ELb0ELb0EEEEEEEE_Li64ENS_4expt15ForallParamPackIJEEEEEvT_T1_, .Lfunc_end1-_ZN4RAJA34launch_new_reduce_global_fcn_fixedIZN8rajaperf4apps15MASS3DPA_ATOMIC17runHipVariantImplILm64EEEvNS1_9VariantIDEEUlNS_14LaunchContextTINS_3hip33LaunchContextIndicesAndDimsPolicyINS7_14IndicesAndDimsILb0ELb0ELb0ELb0EEEEEEEE_Li64ENS_4expt15ForallParamPackIJEEEEEvT_T1_
                                        ; -- End function
	.set _ZN4RAJA34launch_new_reduce_global_fcn_fixedIZN8rajaperf4apps15MASS3DPA_ATOMIC17runHipVariantImplILm64EEEvNS1_9VariantIDEEUlNS_14LaunchContextTINS_3hip33LaunchContextIndicesAndDimsPolicyINS7_14IndicesAndDimsILb0ELb0ELb0ELb0EEEEEEEE_Li64ENS_4expt15ForallParamPackIJEEEEEvT_T1_.num_vgpr, 22
	.set _ZN4RAJA34launch_new_reduce_global_fcn_fixedIZN8rajaperf4apps15MASS3DPA_ATOMIC17runHipVariantImplILm64EEEvNS1_9VariantIDEEUlNS_14LaunchContextTINS_3hip33LaunchContextIndicesAndDimsPolicyINS7_14IndicesAndDimsILb0ELb0ELb0ELb0EEEEEEEE_Li64ENS_4expt15ForallParamPackIJEEEEEvT_T1_.num_agpr, 0
	.set _ZN4RAJA34launch_new_reduce_global_fcn_fixedIZN8rajaperf4apps15MASS3DPA_ATOMIC17runHipVariantImplILm64EEEvNS1_9VariantIDEEUlNS_14LaunchContextTINS_3hip33LaunchContextIndicesAndDimsPolicyINS7_14IndicesAndDimsILb0ELb0ELb0ELb0EEEEEEEE_Li64ENS_4expt15ForallParamPackIJEEEEEvT_T1_.numbered_sgpr, 18
	.set _ZN4RAJA34launch_new_reduce_global_fcn_fixedIZN8rajaperf4apps15MASS3DPA_ATOMIC17runHipVariantImplILm64EEEvNS1_9VariantIDEEUlNS_14LaunchContextTINS_3hip33LaunchContextIndicesAndDimsPolicyINS7_14IndicesAndDimsILb0ELb0ELb0ELb0EEEEEEEE_Li64ENS_4expt15ForallParamPackIJEEEEEvT_T1_.num_named_barrier, 0
	.set _ZN4RAJA34launch_new_reduce_global_fcn_fixedIZN8rajaperf4apps15MASS3DPA_ATOMIC17runHipVariantImplILm64EEEvNS1_9VariantIDEEUlNS_14LaunchContextTINS_3hip33LaunchContextIndicesAndDimsPolicyINS7_14IndicesAndDimsILb0ELb0ELb0ELb0EEEEEEEE_Li64ENS_4expt15ForallParamPackIJEEEEEvT_T1_.private_seg_size, 0
	.set _ZN4RAJA34launch_new_reduce_global_fcn_fixedIZN8rajaperf4apps15MASS3DPA_ATOMIC17runHipVariantImplILm64EEEvNS1_9VariantIDEEUlNS_14LaunchContextTINS_3hip33LaunchContextIndicesAndDimsPolicyINS7_14IndicesAndDimsILb0ELb0ELb0ELb0EEEEEEEE_Li64ENS_4expt15ForallParamPackIJEEEEEvT_T1_.uses_vcc, 1
	.set _ZN4RAJA34launch_new_reduce_global_fcn_fixedIZN8rajaperf4apps15MASS3DPA_ATOMIC17runHipVariantImplILm64EEEvNS1_9VariantIDEEUlNS_14LaunchContextTINS_3hip33LaunchContextIndicesAndDimsPolicyINS7_14IndicesAndDimsILb0ELb0ELb0ELb0EEEEEEEE_Li64ENS_4expt15ForallParamPackIJEEEEEvT_T1_.uses_flat_scratch, 0
	.set _ZN4RAJA34launch_new_reduce_global_fcn_fixedIZN8rajaperf4apps15MASS3DPA_ATOMIC17runHipVariantImplILm64EEEvNS1_9VariantIDEEUlNS_14LaunchContextTINS_3hip33LaunchContextIndicesAndDimsPolicyINS7_14IndicesAndDimsILb0ELb0ELb0ELb0EEEEEEEE_Li64ENS_4expt15ForallParamPackIJEEEEEvT_T1_.has_dyn_sized_stack, 0
	.set _ZN4RAJA34launch_new_reduce_global_fcn_fixedIZN8rajaperf4apps15MASS3DPA_ATOMIC17runHipVariantImplILm64EEEvNS1_9VariantIDEEUlNS_14LaunchContextTINS_3hip33LaunchContextIndicesAndDimsPolicyINS7_14IndicesAndDimsILb0ELb0ELb0ELb0EEEEEEEE_Li64ENS_4expt15ForallParamPackIJEEEEEvT_T1_.has_recursion, 0
	.set _ZN4RAJA34launch_new_reduce_global_fcn_fixedIZN8rajaperf4apps15MASS3DPA_ATOMIC17runHipVariantImplILm64EEEvNS1_9VariantIDEEUlNS_14LaunchContextTINS_3hip33LaunchContextIndicesAndDimsPolicyINS7_14IndicesAndDimsILb0ELb0ELb0ELb0EEEEEEEE_Li64ENS_4expt15ForallParamPackIJEEEEEvT_T1_.has_indirect_call, 0
	.section	.AMDGPU.csdata,"",@progbits
; Kernel info:
; codeLenInByte = 1564
; TotalNumSgprs: 20
; NumVgprs: 22
; ScratchSize: 0
; MemoryBound: 0
; FloatMode: 240
; IeeeMode: 1
; LDSByteSize: 1440 bytes/workgroup (compile time only)
; SGPRBlocks: 0
; VGPRBlocks: 1
; NumSGPRsForWavesPerEU: 20
; NumVGPRsForWavesPerEU: 22
; NamedBarCnt: 0
; Occupancy: 16
; WaveLimiterHint : 1
; COMPUTE_PGM_RSRC2:SCRATCH_EN: 0
; COMPUTE_PGM_RSRC2:USER_SGPR: 2
; COMPUTE_PGM_RSRC2:TRAP_HANDLER: 0
; COMPUTE_PGM_RSRC2:TGID_X_EN: 1
; COMPUTE_PGM_RSRC2:TGID_Y_EN: 0
; COMPUTE_PGM_RSRC2:TGID_Z_EN: 0
; COMPUTE_PGM_RSRC2:TIDIG_COMP_CNT: 2
	.section	.AMDGPU.gpr_maximums,"",@progbits
	.set amdgpu.max_num_vgpr, 0
	.set amdgpu.max_num_agpr, 0
	.set amdgpu.max_num_sgpr, 0
	.section	.AMDGPU.csdata,"",@progbits
	.type	__hip_cuid_ff262646dc609b81,@object ; @__hip_cuid_ff262646dc609b81
	.section	.bss,"aw",@nobits
	.globl	__hip_cuid_ff262646dc609b81
__hip_cuid_ff262646dc609b81:
	.byte	0                               ; 0x0
	.size	__hip_cuid_ff262646dc609b81, 1

	.ident	"AMD clang version 22.0.0git (https://github.com/RadeonOpenCompute/llvm-project roc-7.2.4 26084 f58b06dce1f9c15707c5f808fd002e18c2accf7e)"
	.section	".note.GNU-stack","",@progbits
	.addrsig
	.addrsig_sym __hip_cuid_ff262646dc609b81
	.amdgpu_metadata
---
amdhsa.kernels:
  - .args:
      - .address_space:  global
        .offset:         0
        .size:           8
        .value_kind:     global_buffer
      - .address_space:  global
        .offset:         8
        .size:           8
        .value_kind:     global_buffer
      - .address_space:  global
        .offset:         16
        .size:           8
        .value_kind:     global_buffer
      - .address_space:  global
        .offset:         24
        .size:           8
        .value_kind:     global_buffer
      - .address_space:  global
        .offset:         32
        .size:           8
        .value_kind:     global_buffer
    .group_segment_fixed_size: 1440
    .kernarg_segment_align: 8
    .kernarg_segment_size: 40
    .language:       OpenCL C
    .language_version:
      - 2
      - 0
    .max_flat_workgroup_size: 64
    .name:           _ZN8rajaperf4apps15Mass3DPA_AtomicILm64EEEvPdS2_S2_PlS2_
    .private_segment_fixed_size: 0
    .sgpr_count:     18
    .sgpr_spill_count: 0
    .symbol:         _ZN8rajaperf4apps15Mass3DPA_AtomicILm64EEEvPdS2_S2_PlS2_.kd
    .uniform_work_group_size: 1
    .uses_dynamic_stack: false
    .vgpr_count:     22
    .vgpr_spill_count: 0
    .wavefront_size: 32
  - .args:
      - .offset:         0
        .size:           48
        .value_kind:     by_value
      - .offset:         48
        .size:           1
        .value_kind:     by_value
    .group_segment_fixed_size: 1440
    .kernarg_segment_align: 8
    .kernarg_segment_size: 52
    .language:       OpenCL C
    .language_version:
      - 2
      - 0
    .max_flat_workgroup_size: 64
    .name:           _ZN4RAJA34launch_new_reduce_global_fcn_fixedIZN8rajaperf4apps15MASS3DPA_ATOMIC17runHipVariantImplILm64EEEvNS1_9VariantIDEEUlNS_14LaunchContextTINS_3hip33LaunchContextIndicesAndDimsPolicyINS7_14IndicesAndDimsILb0ELb0ELb0ELb0EEEEEEEE_Li64ENS_4expt15ForallParamPackIJEEEEEvT_T1_
    .private_segment_fixed_size: 0
    .sgpr_count:     20
    .sgpr_spill_count: 0
    .symbol:         _ZN4RAJA34launch_new_reduce_global_fcn_fixedIZN8rajaperf4apps15MASS3DPA_ATOMIC17runHipVariantImplILm64EEEvNS1_9VariantIDEEUlNS_14LaunchContextTINS_3hip33LaunchContextIndicesAndDimsPolicyINS7_14IndicesAndDimsILb0ELb0ELb0ELb0EEEEEEEE_Li64ENS_4expt15ForallParamPackIJEEEEEvT_T1_.kd
    .uniform_work_group_size: 1
    .uses_dynamic_stack: false
    .vgpr_count:     22
    .vgpr_spill_count: 0
    .wavefront_size: 32
amdhsa.target:   amdgcn-amd-amdhsa--gfx1250
amdhsa.version:
  - 1
  - 2
...

	.end_amdgpu_metadata
